;; amdgpu-corpus repo=ROCm/rocFFT kind=compiled arch=gfx1030 opt=O3
	.text
	.amdgcn_target "amdgcn-amd-amdhsa--gfx1030"
	.amdhsa_code_object_version 6
	.protected	bluestein_single_fwd_len500_dim1_sp_op_CI_CI ; -- Begin function bluestein_single_fwd_len500_dim1_sp_op_CI_CI
	.globl	bluestein_single_fwd_len500_dim1_sp_op_CI_CI
	.p2align	8
	.type	bluestein_single_fwd_len500_dim1_sp_op_CI_CI,@function
bluestein_single_fwd_len500_dim1_sp_op_CI_CI: ; @bluestein_single_fwd_len500_dim1_sp_op_CI_CI
; %bb.0:
	s_load_dwordx4 s[0:3], s[4:5], 0x28
	v_mul_u32_u24_e32 v1, 0x290, v0
	v_mov_b32_e32 v45, 0
	v_lshrrev_b32_e32 v1, 16, v1
	v_add_nc_u32_e32 v44, s6, v1
	s_waitcnt lgkmcnt(0)
	v_cmp_gt_u64_e32 vcc_lo, s[0:1], v[44:45]
	s_and_saveexec_b32 s0, vcc_lo
	s_cbranch_execz .LBB0_23
; %bb.1:
	s_clause 0x1
	s_load_dwordx2 s[14:15], s[4:5], 0x0
	s_load_dwordx2 s[12:13], s[4:5], 0x38
	v_mul_lo_u16 v1, 0x64, v1
	v_sub_nc_u16 v0, v0, v1
	v_and_b32_e32 v48, 0xffff, v0
	v_cmp_gt_u16_e32 vcc_lo, 50, v0
	v_lshlrev_b32_e32 v47, 3, v48
	s_and_saveexec_b32 s1, vcc_lo
	s_cbranch_execz .LBB0_3
; %bb.2:
	s_load_dwordx2 s[6:7], s[4:5], 0x18
	s_waitcnt lgkmcnt(0)
	v_add_co_u32 v16, s0, s14, v47
	v_add_co_ci_u32_e64 v17, null, s15, 0, s0
	v_add_nc_u32_e32 v42, 0x800, v47
	s_load_dwordx4 s[8:11], s[6:7], 0x0
	s_waitcnt lgkmcnt(0)
	v_mad_u64_u32 v[0:1], null, s10, v44, 0
	v_mad_u64_u32 v[2:3], null, s8, v48, 0
	s_mul_i32 s6, s9, 0x190
	s_mul_hi_u32 s7, s8, 0x190
	s_add_i32 s7, s7, s6
	v_mad_u64_u32 v[4:5], null, s11, v44, v[1:2]
	v_mad_u64_u32 v[5:6], null, s9, v48, v[3:4]
	v_mov_b32_e32 v1, v4
	s_clause 0x3
	global_load_dwordx2 v[6:7], v47, s[14:15]
	global_load_dwordx2 v[8:9], v47, s[14:15] offset:400
	global_load_dwordx2 v[10:11], v47, s[14:15] offset:800
	;; [unrolled: 1-line block ×3, first 2 shown]
	v_lshlrev_b64 v[0:1], 3, v[0:1]
	v_mov_b32_e32 v3, v5
	s_clause 0x1
	global_load_dwordx2 v[4:5], v47, s[14:15] offset:1600
	global_load_dwordx2 v[14:15], v47, s[14:15] offset:2000
	v_add_co_u32 v0, s0, s2, v0
	v_lshlrev_b64 v[2:3], 3, v[2:3]
	v_add_co_ci_u32_e64 v1, s0, s3, v1, s0
	s_mul_i32 s2, s8, 0x190
	v_add_co_u32 v0, s0, v0, v2
	v_add_co_ci_u32_e64 v1, s0, v1, v3, s0
	v_add_co_u32 v2, s0, v0, s2
	v_add_co_ci_u32_e64 v3, s0, s7, v1, s0
	;; [unrolled: 2-line block ×4, first 2 shown]
	s_clause 0x1
	global_load_dwordx2 v[20:21], v[16:17], off offset:352
	global_load_dwordx2 v[22:23], v[16:17], off offset:752
	v_add_co_u32 v24, s0, v18, s2
	v_add_co_ci_u32_e64 v25, s0, s7, v19, s0
	global_load_dwordx2 v[0:1], v[0:1], off
	v_add_co_u32 v26, s0, v24, s2
	v_add_co_ci_u32_e64 v27, s0, s7, v25, s0
	s_clause 0x2
	global_load_dwordx2 v[2:3], v[2:3], off
	global_load_dwordx2 v[18:19], v[18:19], off
	global_load_dwordx2 v[24:25], v[24:25], off
	v_add_co_u32 v28, s0, v26, s2
	v_add_co_ci_u32_e64 v29, s0, s7, v27, s0
	global_load_dwordx2 v[26:27], v[26:27], off
	v_add_co_u32 v30, s0, v28, s2
	v_add_co_ci_u32_e64 v31, s0, s7, v29, s0
	global_load_dwordx2 v[28:29], v[28:29], off
	v_add_co_u32 v32, s0, v30, s2
	v_add_co_ci_u32_e64 v33, s0, s7, v31, s0
	global_load_dwordx2 v[30:31], v[30:31], off
	v_add_co_u32 v34, s0, v32, s2
	v_add_co_ci_u32_e64 v35, s0, s7, v33, s0
	global_load_dwordx2 v[32:33], v[32:33], off
	v_add_co_u32 v36, s0, v34, s2
	v_add_co_ci_u32_e64 v37, s0, s7, v35, s0
	global_load_dwordx2 v[34:35], v[34:35], off
	s_clause 0x1
	global_load_dwordx2 v[38:39], v[16:17], off offset:1152
	global_load_dwordx2 v[16:17], v[16:17], off offset:1552
	global_load_dwordx2 v[36:37], v[36:37], off
	s_waitcnt vmcnt(11)
	v_mul_f32_e32 v40, v1, v7
	v_mul_f32_e32 v41, v0, v7
	s_waitcnt vmcnt(10)
	v_mul_f32_e32 v7, v3, v9
	v_mul_f32_e32 v9, v2, v9
	v_fmac_f32_e32 v40, v0, v6
	s_waitcnt vmcnt(9)
	v_mul_f32_e32 v0, v19, v11
	v_fma_f32 v41, v1, v6, -v41
	v_fmac_f32_e32 v7, v2, v8
	v_fma_f32 v8, v3, v8, -v9
	v_mul_f32_e32 v1, v18, v11
	s_waitcnt vmcnt(7)
	v_mul_f32_e32 v9, v27, v5
	v_mul_f32_e32 v6, v26, v5
	v_fmac_f32_e32 v0, v18, v10
	v_mul_f32_e32 v2, v25, v13
	v_mul_f32_e32 v3, v24, v13
	v_fma_f32 v1, v19, v10, -v1
	v_fmac_f32_e32 v9, v26, v4
	v_fma_f32 v10, v27, v4, -v6
	s_waitcnt vmcnt(6)
	v_mul_f32_e32 v4, v28, v15
	v_mul_f32_e32 v5, v29, v15
	v_fmac_f32_e32 v2, v24, v12
	v_fma_f32 v3, v25, v12, -v3
	s_waitcnt vmcnt(5)
	v_mul_f32_e32 v11, v31, v21
	v_mul_f32_e32 v12, v30, v21
	s_waitcnt vmcnt(4)
	v_mul_f32_e32 v13, v33, v23
	v_fma_f32 v6, v29, v14, -v4
	v_mul_f32_e32 v4, v32, v23
	s_waitcnt vmcnt(2)
	v_mul_f32_e32 v18, v35, v39
	v_mul_f32_e32 v19, v34, v39
	s_waitcnt vmcnt(0)
	v_mul_f32_e32 v15, v37, v17
	v_mul_f32_e32 v17, v36, v17
	v_fmac_f32_e32 v5, v28, v14
	v_fmac_f32_e32 v11, v30, v20
	v_fma_f32 v12, v31, v20, -v12
	v_fmac_f32_e32 v13, v32, v22
	v_fma_f32 v14, v33, v22, -v4
	;; [unrolled: 2-line block ×4, first 2 shown]
	ds_write2_b64 v47, v[40:41], v[7:8] offset1:50
	ds_write2_b64 v47, v[0:1], v[2:3] offset0:100 offset1:150
	ds_write2_b64 v47, v[9:10], v[5:6] offset0:200 offset1:250
	;; [unrolled: 1-line block ×4, first 2 shown]
.LBB0_3:
	s_or_b32 exec_lo, exec_lo, s1
	s_clause 0x1
	s_load_dwordx2 s[2:3], s[4:5], 0x20
	s_load_dwordx2 s[0:1], s[4:5], 0x8
	s_waitcnt lgkmcnt(0)
	s_barrier
	buffer_gl0_inv
                                        ; implicit-def: $vgpr0
                                        ; implicit-def: $vgpr12
                                        ; implicit-def: $vgpr16
                                        ; implicit-def: $vgpr8
                                        ; implicit-def: $vgpr4
	s_and_saveexec_b32 s4, vcc_lo
	s_cbranch_execz .LBB0_5
; %bb.4:
	v_add_nc_u32_e32 v4, 0x800, v47
	ds_read2_b64 v[0:3], v47 offset1:50
	ds_read2_b64 v[12:15], v47 offset0:100 offset1:150
	ds_read2_b64 v[16:19], v47 offset0:200 offset1:250
	;; [unrolled: 1-line block ×4, first 2 shown]
.LBB0_5:
	s_or_b32 exec_lo, exec_lo, s4
	s_waitcnt lgkmcnt(1)
	v_add_f32_e32 v20, v16, v8
	v_add_f32_e32 v21, v0, v12
	s_waitcnt lgkmcnt(0)
	v_sub_f32_e32 v24, v13, v5
	v_sub_f32_e32 v22, v12, v16
	;; [unrolled: 1-line block ×3, first 2 shown]
	v_fma_f32 v20, -0.5, v20, v0
	v_add_f32_e32 v26, v12, v4
	v_add_f32_e32 v27, v21, v16
	v_sub_f32_e32 v25, v17, v9
	v_add_f32_e32 v29, v22, v23
	v_fmamk_f32 v21, v24, 0x3f737871, v20
	v_fmac_f32_e32 v0, -0.5, v26
	v_add_f32_e32 v23, v27, v8
	v_fmac_f32_e32 v20, 0xbf737871, v24
	v_add_f32_e32 v27, v1, v13
	v_fmac_f32_e32 v21, 0x3f167918, v25
	v_fmamk_f32 v22, v25, 0xbf737871, v0
	v_fmac_f32_e32 v0, 0x3f737871, v25
	v_fmac_f32_e32 v20, 0xbf167918, v25
	v_add_f32_e32 v25, v27, v17
	v_sub_f32_e32 v28, v16, v12
	v_sub_f32_e32 v26, v8, v4
	v_add_f32_e32 v30, v17, v9
	v_fmac_f32_e32 v22, 0x3f167918, v24
	v_sub_f32_e32 v27, v12, v4
	v_fmac_f32_e32 v0, 0xbf167918, v24
	v_add_f32_e32 v12, v25, v9
	v_add_f32_e32 v24, v13, v5
	v_fmac_f32_e32 v21, 0x3e9e377a, v29
	v_add_f32_e32 v26, v28, v26
	v_fma_f32 v28, -0.5, v30, v1
	v_fmac_f32_e32 v20, 0x3e9e377a, v29
	v_sub_f32_e32 v16, v16, v8
	v_sub_f32_e32 v25, v13, v17
	;; [unrolled: 1-line block ×3, first 2 shown]
	v_fmac_f32_e32 v1, -0.5, v24
	v_add_f32_e32 v8, v12, v5
	v_sub_f32_e32 v13, v17, v13
	v_sub_f32_e32 v5, v9, v5
	v_add_f32_e32 v9, v2, v14
	v_add_f32_e32 v23, v23, v4
	v_fmamk_f32 v4, v27, 0xbf737871, v28
	v_fmac_f32_e32 v28, 0x3f737871, v27
	v_fmamk_f32 v12, v16, 0x3f737871, v1
	v_add_f32_e32 v5, v13, v5
	v_fmac_f32_e32 v1, 0xbf737871, v16
	v_add_f32_e32 v9, v9, v18
	v_add_f32_e32 v13, v18, v10
	v_fmac_f32_e32 v4, 0xbf167918, v16
	v_fmac_f32_e32 v28, 0x3f167918, v16
	;; [unrolled: 1-line block ×4, first 2 shown]
	v_add_f32_e32 v9, v9, v10
	v_fma_f32 v16, -0.5, v13, v2
	v_add_f32_e32 v13, v14, v6
	v_add_f32_e32 v24, v25, v29
	v_fmac_f32_e32 v12, 0x3e9e377a, v5
	v_sub_f32_e32 v17, v15, v7
	v_fmac_f32_e32 v1, 0x3e9e377a, v5
	v_add_f32_e32 v5, v9, v6
	v_sub_f32_e32 v9, v19, v11
	v_fmac_f32_e32 v2, -0.5, v13
	v_fmac_f32_e32 v22, 0x3e9e377a, v26
	v_fmac_f32_e32 v0, 0x3e9e377a, v26
	;; [unrolled: 1-line block ×4, first 2 shown]
	v_fmamk_f32 v13, v17, 0x3f737871, v16
	v_sub_f32_e32 v24, v14, v18
	v_sub_f32_e32 v25, v6, v10
	v_fmac_f32_e32 v16, 0xbf737871, v17
	v_fmamk_f32 v26, v9, 0xbf737871, v2
	v_fmac_f32_e32 v2, 0x3f737871, v9
	v_sub_f32_e32 v27, v18, v14
	v_sub_f32_e32 v29, v10, v6
	v_fmac_f32_e32 v13, 0x3f167918, v9
	v_add_f32_e32 v24, v24, v25
	v_fmac_f32_e32 v16, 0xbf167918, v9
	v_fmac_f32_e32 v26, 0x3f167918, v17
	v_add_f32_e32 v9, v19, v11
	v_fmac_f32_e32 v2, 0xbf167918, v17
	v_add_f32_e32 v17, v15, v7
	v_add_f32_e32 v25, v27, v29
	v_fmac_f32_e32 v13, 0x3e9e377a, v24
	v_fmac_f32_e32 v16, 0x3e9e377a, v24
	v_add_f32_e32 v24, v3, v15
	v_fma_f32 v27, -0.5, v9, v3
	v_sub_f32_e32 v6, v14, v6
	v_sub_f32_e32 v9, v18, v10
	v_fmac_f32_e32 v3, -0.5, v17
	v_add_f32_e32 v10, v24, v19
	v_sub_f32_e32 v17, v15, v19
	v_fmamk_f32 v14, v6, 0xbf737871, v27
	v_sub_f32_e32 v15, v19, v15
	v_fmamk_f32 v18, v9, 0x3f737871, v3
	v_sub_f32_e32 v19, v11, v7
	v_sub_f32_e32 v24, v7, v11
	v_fmac_f32_e32 v3, 0xbf737871, v9
	v_fmac_f32_e32 v27, 0x3f737871, v6
	;; [unrolled: 1-line block ×4, first 2 shown]
	v_add_f32_e32 v15, v15, v19
	v_add_f32_e32 v17, v17, v24
	v_fmac_f32_e32 v3, 0x3f167918, v6
	v_fmac_f32_e32 v27, 0x3f167918, v9
	;; [unrolled: 1-line block ×4, first 2 shown]
	v_add_f32_e32 v10, v10, v11
	v_fmac_f32_e32 v18, 0x3e9e377a, v15
	v_fmac_f32_e32 v3, 0x3e9e377a, v15
	v_mul_f32_e32 v11, 0x3e9e377a, v2
	v_fmac_f32_e32 v27, 0x3e9e377a, v17
	v_fmac_f32_e32 v14, 0x3e9e377a, v17
	v_mul_f32_e32 v6, 0x3f4f1bbd, v13
	v_mul_f32_e32 v9, 0x3f737871, v18
	v_add_f32_e32 v7, v10, v7
	v_fma_f32 v10, 0x3f737871, v3, -v11
	v_mul_f32_e32 v15, 0x3f4f1bbd, v16
	v_mul_f32_e32 v11, 0xbf167918, v13
	;; [unrolled: 1-line block ×5, first 2 shown]
	v_fmac_f32_e32 v6, 0x3f167918, v14
	v_fmac_f32_e32 v9, 0x3e9e377a, v26
	v_fma_f32 v3, 0x3f167918, v27, -v15
	v_fmac_f32_e32 v11, 0x3f4f1bbd, v14
	v_fmac_f32_e32 v13, 0x3e9e377a, v18
	v_fma_f32 v2, 0xbf737871, v2, -v17
	v_fma_f32 v14, 0xbf167918, v16, -v19
	v_sub_f32_e32 v30, v23, v5
	v_sub_f32_e32 v24, v21, v6
	;; [unrolled: 1-line block ×10, first 2 shown]
	v_mul_lo_u16 v50, v48, 10
	s_barrier
	buffer_gl0_inv
	s_and_saveexec_b32 s4, vcc_lo
	s_cbranch_execz .LBB0_7
; %bb.6:
	v_add_f32_e32 v29, v28, v14
	v_add_f32_e32 v14, v1, v2
	v_mov_b32_e32 v1, 3
	v_add_f32_e32 v12, v12, v13
	v_add_f32_e32 v18, v4, v11
	;; [unrolled: 1-line block ×6, first 2 shown]
	v_lshlrev_b32_sdwa v0, v1, v50 dst_sel:DWORD dst_unused:UNUSED_PAD src0_sel:DWORD src1_sel:WORD_0
	v_add_f32_e32 v11, v22, v9
	v_add_f32_e32 v28, v20, v3
	ds_write_b128 v0, v[15:18]
	ds_write_b128 v0, v[11:14] offset:16
	ds_write_b128 v0, v[28:31] offset:32
	;; [unrolled: 1-line block ×4, first 2 shown]
.LBB0_7:
	s_or_b32 exec_lo, exec_lo, s4
	v_and_b32_e32 v0, 0xff, v48
	s_load_dwordx4 s[4:7], s[2:3], 0x0
	s_waitcnt lgkmcnt(0)
	s_barrier
	buffer_gl0_inv
	v_mul_lo_u16 v0, 0xcd, v0
	v_add_nc_u32_e32 v4, 0x400, v47
	v_mov_b32_e32 v12, 50
	v_lshrrev_b16 v10, 11, v0
	v_mul_lo_u16 v0, v10, 10
	v_mul_u32_u24_sdwa v10, v10, v12 dst_sel:DWORD dst_unused:UNUSED_PAD src0_sel:WORD_0 src1_sel:DWORD
	v_sub_nc_u16 v0, v48, v0
	v_and_b32_e32 v11, 0xff, v0
	v_lshlrev_b32_e32 v0, 5, v11
	v_add_lshl_u32 v49, v10, v11, 3
	s_clause 0x1
	global_load_dwordx4 v[20:23], v0, s[0:1]
	global_load_dwordx4 v[16:19], v0, s[0:1] offset:16
	ds_read2_b64 v[0:3], v47 offset1:100
	ds_read2_b64 v[4:7], v4 offset0:72 offset1:172
	ds_read_b64 v[8:9], v47 offset:3200
	s_waitcnt vmcnt(0) lgkmcnt(0)
	s_barrier
	buffer_gl0_inv
	v_mul_f32_e32 v10, v3, v21
	v_mul_f32_e32 v11, v2, v21
	;; [unrolled: 1-line block ×8, first 2 shown]
	v_fma_f32 v2, v2, v20, -v10
	v_fmac_f32_e32 v11, v3, v20
	v_fma_f32 v3, v4, v22, -v12
	v_fmac_f32_e32 v13, v5, v22
	;; [unrolled: 2-line block ×3, first 2 shown]
	v_fmac_f32_e32 v15, v7, v16
	v_fma_f32 v5, v8, v18, -v28
	v_sub_f32_e32 v29, v3, v2
	v_add_f32_e32 v7, v3, v4
	v_add_f32_e32 v43, v11, v37
	;; [unrolled: 1-line block ×4, first 2 shown]
	v_sub_f32_e32 v36, v4, v5
	v_add_f32_e32 v6, v0, v2
	v_sub_f32_e32 v8, v11, v37
	v_sub_f32_e32 v9, v13, v15
	;; [unrolled: 1-line block ×4, first 2 shown]
	v_add_f32_e32 v38, v1, v11
	v_sub_f32_e32 v2, v2, v5
	v_sub_f32_e32 v45, v3, v4
	;; [unrolled: 1-line block ×4, first 2 shown]
	v_fma_f32 v28, -0.5, v7, v0
	v_fma_f32 v42, -0.5, v14, v0
	v_add_f32_e32 v0, v29, v36
	v_fma_f32 v29, -0.5, v39, v1
	v_fma_f32 v43, -0.5, v43, v1
	v_sub_f32_e32 v11, v13, v11
	v_sub_f32_e32 v46, v15, v37
	v_add_f32_e32 v3, v6, v3
	v_add_f32_e32 v6, v10, v12
	;; [unrolled: 1-line block ×4, first 2 shown]
	v_fmamk_f32 v38, v8, 0x3f737871, v28
	v_fmac_f32_e32 v28, 0xbf737871, v8
	v_fmamk_f32 v40, v9, 0xbf737871, v42
	v_fmac_f32_e32 v42, 0x3f737871, v9
	;; [unrolled: 2-line block ×4, first 2 shown]
	v_add_f32_e32 v1, v11, v46
	v_add_f32_e32 v3, v3, v4
	;; [unrolled: 1-line block ×3, first 2 shown]
	v_fmac_f32_e32 v38, 0x3f167918, v9
	v_fmac_f32_e32 v28, 0xbf167918, v9
	;; [unrolled: 1-line block ×8, first 2 shown]
	v_add_f32_e32 v36, v3, v5
	v_add_f32_e32 v37, v4, v37
	v_fmac_f32_e32 v38, 0x3e9e377a, v6
	v_fmac_f32_e32 v28, 0x3e9e377a, v6
	v_fmac_f32_e32 v40, 0x3e9e377a, v0
	v_fmac_f32_e32 v42, 0x3e9e377a, v0
	v_fmac_f32_e32 v39, 0x3e9e377a, v10
	v_fmac_f32_e32 v41, 0x3e9e377a, v1
	v_fmac_f32_e32 v43, 0x3e9e377a, v1
	v_fmac_f32_e32 v29, 0x3e9e377a, v10
	ds_write2_b64 v49, v[36:37], v[38:39] offset1:10
	ds_write2_b64 v49, v[40:41], v[42:43] offset0:20 offset1:30
	ds_write_b64 v49, v[28:29] offset:320
	s_waitcnt lgkmcnt(0)
	s_barrier
	buffer_gl0_inv
	s_and_saveexec_b32 s2, vcc_lo
	s_cbranch_execz .LBB0_9
; %bb.8:
	v_add_nc_u32_e32 v0, 0x800, v47
	ds_read2_b64 v[36:39], v47 offset1:50
	ds_read2_b64 v[40:43], v47 offset0:100 offset1:150
	ds_read2_b64 v[28:31], v47 offset0:200 offset1:250
	;; [unrolled: 1-line block ×4, first 2 shown]
.LBB0_9:
	s_or_b32 exec_lo, exec_lo, s2
	v_subrev_nc_u32_e32 v0, 50, v48
	v_cndmask_b32_e32 v0, v0, v48, vcc_lo
	v_mul_i32_i24_e32 v1, 0x48, v0
	v_mul_hi_i32_i24_e32 v0, 0x48, v0
	v_add_co_u32 v45, s0, s0, v1
	v_add_co_ci_u32_e64 v46, s0, s1, v0, s0
	s_clause 0x4
	global_load_dwordx4 v[4:7], v[45:46], off offset:320
	global_load_dwordx4 v[0:3], v[45:46], off offset:336
	;; [unrolled: 1-line block ×4, first 2 shown]
	global_load_dwordx2 v[45:46], v[45:46], off offset:384
	s_waitcnt vmcnt(4) lgkmcnt(4)
	v_mul_f32_e32 v51, v39, v5
	v_mul_f32_e32 v52, v38, v5
	s_waitcnt lgkmcnt(3)
	v_mul_f32_e32 v53, v41, v7
	v_mul_f32_e32 v54, v40, v7
	s_waitcnt vmcnt(3)
	v_mul_f32_e32 v55, v43, v1
	v_mul_f32_e32 v56, v42, v1
	s_waitcnt lgkmcnt(2)
	v_mul_f32_e32 v57, v29, v3
	v_mul_f32_e32 v58, v28, v3
	s_waitcnt vmcnt(2)
	;; [unrolled: 6-line block ×4, first 2 shown]
	v_mul_f32_e32 v67, v35, v46
	v_mul_f32_e32 v68, v34, v46
	v_fma_f32 v38, v38, v4, -v51
	v_fmac_f32_e32 v52, v39, v4
	v_fma_f32 v39, v40, v6, -v53
	v_fmac_f32_e32 v54, v41, v6
	;; [unrolled: 2-line block ×9, first 2 shown]
	v_add_f32_e32 v30, v36, v39
	v_add_f32_e32 v31, v28, v24
	v_sub_f32_e32 v34, v39, v28
	v_sub_f32_e32 v35, v26, v24
	v_add_f32_e32 v41, v39, v26
	v_add_f32_e32 v51, v37, v54
	;; [unrolled: 1-line block ×3, first 2 shown]
	v_sub_f32_e32 v57, v54, v58
	v_sub_f32_e32 v59, v66, v62
	v_add_f32_e32 v65, v38, v40
	v_add_f32_e32 v67, v29, v25
	;; [unrolled: 1-line block ×6, first 2 shown]
	v_sub_f32_e32 v32, v54, v66
	v_sub_f32_e32 v33, v58, v62
	;; [unrolled: 1-line block ×4, first 2 shown]
	v_add_f32_e32 v61, v54, v66
	v_sub_f32_e32 v54, v58, v54
	v_sub_f32_e32 v69, v56, v68
	;; [unrolled: 1-line block ×7, first 2 shown]
	v_add_f32_e32 v28, v30, v28
	v_add_f32_e32 v30, v34, v35
	v_fma_f32 v35, -0.5, v31, v36
	v_fmac_f32_e32 v36, -0.5, v41
	v_add_f32_e32 v34, v51, v58
	v_add_f32_e32 v41, v57, v59
	v_fma_f32 v51, -0.5, v53, v37
	v_fma_f32 v53, -0.5, v67, v38
	v_fmac_f32_e32 v38, -0.5, v73
	v_add_f32_e32 v57, v76, v60
	v_add_f32_e32 v29, v65, v29
	v_fma_f32 v58, -0.5, v77, v52
	v_fmac_f32_e32 v52, -0.5, v80
	v_sub_f32_e32 v43, v24, v26
	v_sub_f32_e32 v63, v62, v66
	;; [unrolled: 1-line block ×8, first 2 shown]
	v_add_f32_e32 v24, v28, v24
	v_add_f32_e32 v28, v34, v62
	;; [unrolled: 1-line block ×3, first 2 shown]
	v_fmamk_f32 v29, v69, 0x3f737871, v53
	v_fmac_f32_e32 v53, 0xbf737871, v69
	v_fmamk_f32 v34, v70, 0xbf737871, v38
	v_fmac_f32_e32 v38, 0x3f737871, v70
	v_add_f32_e32 v57, v57, v64
	v_fmamk_f32 v64, v40, 0xbf737871, v58
	v_fmac_f32_e32 v58, 0x3f737871, v40
	v_fmamk_f32 v65, v82, 0x3f737871, v52
	v_fmac_f32_e32 v52, 0xbf737871, v82
	v_sub_f32_e32 v39, v39, v26
	v_add_f32_e32 v31, v42, v43
	v_fmac_f32_e32 v37, -0.5, v61
	v_add_f32_e32 v42, v54, v63
	v_add_f32_e32 v43, v71, v72
	;; [unrolled: 1-line block ×5, first 2 shown]
	v_fmamk_f32 v60, v32, 0x3f737871, v35
	v_fmac_f32_e32 v35, 0xbf737871, v32
	v_fmamk_f32 v61, v33, 0xbf737871, v36
	v_fmac_f32_e32 v36, 0x3f737871, v33
	v_fmac_f32_e32 v29, 0x3f167918, v70
	;; [unrolled: 1-line block ×9, first 2 shown]
	v_fmamk_f32 v62, v39, 0xbf737871, v51
	v_fmac_f32_e32 v51, 0x3f737871, v39
	v_fmamk_f32 v63, v55, 0x3f737871, v37
	v_fmac_f32_e32 v37, 0xbf737871, v55
	v_add_f32_e32 v26, v24, v26
	v_fmac_f32_e32 v60, 0x3f167918, v33
	v_fmac_f32_e32 v35, 0xbf167918, v33
	;; [unrolled: 1-line block ×4, first 2 shown]
	v_add_f32_e32 v28, v28, v66
	v_add_f32_e32 v27, v25, v27
	;; [unrolled: 1-line block ×3, first 2 shown]
	v_fmac_f32_e32 v29, 0x3e9e377a, v43
	v_fmac_f32_e32 v53, 0x3e9e377a, v43
	;; [unrolled: 1-line block ×16, first 2 shown]
	v_add_f32_e32 v24, v26, v27
	v_add_f32_e32 v25, v28, v32
	v_sub_f32_e32 v30, v26, v27
	v_sub_f32_e32 v31, v28, v32
	v_mul_f32_e32 v32, 0x3f167918, v64
	v_mul_f32_e32 v33, 0x3f737871, v65
	;; [unrolled: 1-line block ×8, first 2 shown]
	v_fmac_f32_e32 v62, 0x3e9e377a, v41
	v_fmac_f32_e32 v51, 0x3e9e377a, v41
	;; [unrolled: 1-line block ×6, first 2 shown]
	v_fma_f32 v52, 0x3f737871, v52, -v26
	v_fma_f32 v55, 0x3f167918, v58, -v27
	v_fmac_f32_e32 v39, 0x3f4f1bbd, v64
	v_fmac_f32_e32 v54, 0x3e9e377a, v65
	v_fma_f32 v56, 0xbf737871, v38, -v28
	v_fma_f32 v53, 0xbf167918, v53, -v40
	v_add_f32_e32 v26, v60, v32
	v_add_f32_e32 v40, v61, v33
	;; [unrolled: 1-line block ×8, first 2 shown]
	v_sub_f32_e32 v32, v60, v32
	v_sub_f32_e32 v34, v61, v33
	;; [unrolled: 1-line block ×8, first 2 shown]
	s_and_saveexec_b32 s0, vcc_lo
	s_cbranch_execz .LBB0_11
; %bb.10:
	v_add_nc_u32_e32 v51, 0x800, v47
	ds_write2_b64 v47, v[24:25], v[26:27] offset1:50
	ds_write2_b64 v47, v[40:41], v[42:43] offset0:100 offset1:150
	ds_write2_b64 v47, v[28:29], v[30:31] offset0:200 offset1:250
	;; [unrolled: 1-line block ×4, first 2 shown]
.LBB0_11:
	s_or_b32 exec_lo, exec_lo, s0
	s_waitcnt lgkmcnt(0)
	s_barrier
	buffer_gl0_inv
	s_and_saveexec_b32 s1, vcc_lo
	s_cbranch_execz .LBB0_13
; %bb.12:
	v_add_co_u32 v57, s0, s14, v47
	v_add_co_ci_u32_e64 v58, null, s15, 0, s0
	v_add_co_u32 v51, s0, 0x800, v57
	v_add_co_ci_u32_e64 v52, s0, 0, v58, s0
	v_add_co_u32 v53, s0, 0xfa0, v57
	v_add_co_ci_u32_e64 v54, s0, 0, v58, s0
	v_add_co_u32 v57, s0, 0x1800, v57
	s_clause 0x1
	global_load_dwordx2 v[51:52], v[51:52], off offset:1952
	global_load_dwordx2 v[55:56], v[53:54], off offset:400
	v_add_co_ci_u32_e64 v58, s0, 0, v58, s0
	s_clause 0x7
	global_load_dwordx2 v[59:60], v[53:54], off offset:800
	global_load_dwordx2 v[61:62], v[53:54], off offset:1200
	;; [unrolled: 1-line block ×8, first 2 shown]
	ds_read_b64 v[71:72], v47
	ds_read_b64 v[73:74], v47 offset:400
	ds_read_b64 v[75:76], v47 offset:800
	;; [unrolled: 1-line block ×9, first 2 shown]
	s_waitcnt vmcnt(5) lgkmcnt(5)
	v_mul_f32_e32 v96, v80, v64
	v_mul_f32_e32 v91, v72, v52
	;; [unrolled: 1-line block ×10, first 2 shown]
	s_waitcnt vmcnt(4) lgkmcnt(4)
	v_mul_f32_e32 v97, v82, v54
	v_mul_f32_e32 v64, v81, v54
	s_waitcnt vmcnt(3) lgkmcnt(3)
	v_mul_f32_e32 v98, v84, v66
	v_mul_f32_e32 v54, v83, v66
	;; [unrolled: 3-line block ×5, first 2 shown]
	v_fma_f32 v91, v71, v51, -v91
	v_fmac_f32_e32 v92, v72, v51
	v_fma_f32 v51, v73, v55, -v93
	v_fmac_f32_e32 v52, v74, v55
	;; [unrolled: 2-line block ×10, first 2 shown]
	ds_write_b64 v47, v[91:92]
	ds_write_b64 v47, v[51:52] offset:400
	ds_write_b64 v47, v[55:56] offset:800
	ds_write_b64 v47, v[59:60] offset:1200
	ds_write_b64 v47, v[61:62] offset:1600
	ds_write_b64 v47, v[63:64] offset:2000
	ds_write_b64 v47, v[53:54] offset:2400
	ds_write_b64 v47, v[65:66] offset:2800
	ds_write_b64 v47, v[67:68] offset:3200
	ds_write_b64 v47, v[69:70] offset:3600
.LBB0_13:
	s_or_b32 exec_lo, exec_lo, s1
	s_waitcnt lgkmcnt(0)
	s_barrier
	buffer_gl0_inv
	s_and_saveexec_b32 s0, vcc_lo
	s_cbranch_execz .LBB0_15
; %bb.14:
	v_add_nc_u32_e32 v36, 0x800, v47
	ds_read2_b64 v[24:27], v47 offset1:50
	ds_read2_b64 v[40:43], v47 offset0:100 offset1:150
	ds_read2_b64 v[28:31], v47 offset0:200 offset1:250
	;; [unrolled: 1-line block ×4, first 2 shown]
.LBB0_15:
	s_or_b32 exec_lo, exec_lo, s0
	s_waitcnt lgkmcnt(3)
	v_add_f32_e32 v52, v24, v40
	s_waitcnt lgkmcnt(1)
	v_add_f32_e32 v51, v28, v32
	v_sub_f32_e32 v53, v40, v28
	s_waitcnt lgkmcnt(0)
	v_sub_f32_e32 v54, v36, v32
	v_add_f32_e32 v57, v40, v36
	v_add_f32_e32 v58, v52, v28
	v_sub_f32_e32 v56, v41, v37
	v_sub_f32_e32 v55, v29, v33
	v_fma_f32 v51, -0.5, v51, v24
	v_add_f32_e32 v60, v53, v54
	v_fmac_f32_e32 v24, -0.5, v57
	v_add_f32_e32 v54, v58, v32
	v_add_f32_e32 v58, v25, v41
	v_fmamk_f32 v52, v56, 0xbf737871, v51
	v_fmac_f32_e32 v51, 0x3f737871, v56
	v_fmamk_f32 v53, v55, 0x3f737871, v24
	v_add_f32_e32 v61, v29, v33
	v_fmac_f32_e32 v24, 0xbf737871, v55
	v_add_f32_e32 v58, v58, v29
	v_sub_f32_e32 v59, v28, v40
	v_fmac_f32_e32 v52, 0xbf167918, v55
	v_sub_f32_e32 v57, v32, v36
	v_add_f32_e32 v54, v54, v36
	v_fmac_f32_e32 v51, 0x3f167918, v55
	v_fmac_f32_e32 v53, 0xbf167918, v56
	v_fma_f32 v55, -0.5, v61, v25
	v_sub_f32_e32 v36, v40, v36
	v_fmac_f32_e32 v24, 0x3f167918, v56
	v_add_f32_e32 v56, v58, v33
	v_add_f32_e32 v58, v41, v37
	;; [unrolled: 1-line block ×3, first 2 shown]
	v_fmamk_f32 v40, v36, 0x3f737871, v55
	v_sub_f32_e32 v28, v28, v32
	v_sub_f32_e32 v32, v41, v29
	;; [unrolled: 1-line block ×3, first 2 shown]
	v_fmac_f32_e32 v25, -0.5, v58
	v_add_f32_e32 v56, v56, v37
	v_fmac_f32_e32 v55, 0xbf737871, v36
	v_sub_f32_e32 v29, v29, v41
	v_sub_f32_e32 v33, v33, v37
	v_add_f32_e32 v37, v26, v42
	v_fmac_f32_e32 v53, 0x3e9e377a, v57
	v_fmac_f32_e32 v24, 0x3e9e377a, v57
	;; [unrolled: 1-line block ×3, first 2 shown]
	v_add_f32_e32 v32, v32, v59
	v_fmamk_f32 v57, v28, 0xbf737871, v25
	v_fmac_f32_e32 v55, 0xbf167918, v28
	v_add_f32_e32 v29, v29, v33
	v_fmac_f32_e32 v25, 0x3f737871, v28
	v_add_f32_e32 v28, v37, v30
	v_add_f32_e32 v33, v30, v34
	v_fmac_f32_e32 v40, 0x3e9e377a, v32
	v_fmac_f32_e32 v57, 0x3f167918, v36
	;; [unrolled: 1-line block ×4, first 2 shown]
	v_add_f32_e32 v28, v28, v34
	v_fma_f32 v32, -0.5, v33, v26
	v_add_f32_e32 v33, v42, v38
	v_sub_f32_e32 v36, v43, v39
	v_fmac_f32_e32 v57, 0x3e9e377a, v29
	v_fmac_f32_e32 v25, 0x3e9e377a, v29
	v_add_f32_e32 v41, v28, v38
	v_sub_f32_e32 v28, v31, v35
	v_fmac_f32_e32 v26, -0.5, v33
	v_fmamk_f32 v29, v36, 0xbf737871, v32
	v_sub_f32_e32 v33, v42, v30
	v_sub_f32_e32 v37, v38, v34
	v_fmac_f32_e32 v32, 0x3f737871, v36
	v_fmamk_f32 v61, v28, 0x3f737871, v26
	v_fmac_f32_e32 v29, 0xbf167918, v28
	v_sub_f32_e32 v58, v30, v42
	v_add_f32_e32 v33, v33, v37
	v_fmac_f32_e32 v32, 0x3f167918, v28
	v_sub_f32_e32 v59, v34, v38
	v_fmac_f32_e32 v26, 0xbf737871, v28
	v_add_f32_e32 v28, v31, v35
	v_fmac_f32_e32 v29, 0x3e9e377a, v33
	v_fmac_f32_e32 v32, 0x3e9e377a, v33
	v_add_f32_e32 v33, v43, v39
	v_fmac_f32_e32 v61, 0xbf167918, v36
	v_add_f32_e32 v37, v58, v59
	v_fmac_f32_e32 v26, 0x3f167918, v36
	v_fma_f32 v28, -0.5, v28, v27
	v_sub_f32_e32 v36, v42, v38
	v_add_f32_e32 v38, v27, v43
	v_sub_f32_e32 v30, v30, v34
	v_fmac_f32_e32 v27, -0.5, v33
	v_fmac_f32_e32 v61, 0x3e9e377a, v37
	v_fmac_f32_e32 v26, 0x3e9e377a, v37
	v_fmamk_f32 v33, v36, 0x3f737871, v28
	v_sub_f32_e32 v34, v43, v31
	v_sub_f32_e32 v37, v39, v35
	v_fmamk_f32 v59, v30, 0xbf737871, v27
	v_sub_f32_e32 v42, v31, v43
	v_sub_f32_e32 v43, v35, v39
	v_fmac_f32_e32 v27, 0x3f737871, v30
	v_fmac_f32_e32 v28, 0xbf737871, v36
	v_fmac_f32_e32 v33, 0x3f167918, v30
	v_add_f32_e32 v37, v34, v37
	v_fmac_f32_e32 v59, 0x3f167918, v36
	v_add_f32_e32 v34, v42, v43
	v_fmac_f32_e32 v27, 0xbf167918, v36
	;; [unrolled: 2-line block ×3, first 2 shown]
	v_fmac_f32_e32 v33, 0x3e9e377a, v37
	v_fmac_f32_e32 v59, 0x3e9e377a, v34
	;; [unrolled: 1-line block ×3, first 2 shown]
	v_add_f32_e32 v30, v31, v35
	v_fmac_f32_e32 v28, 0x3e9e377a, v37
	v_fmac_f32_e32 v52, 0x3e9e377a, v60
	;; [unrolled: 1-line block ×3, first 2 shown]
	v_mul_f32_e32 v34, 0xbf167918, v33
	v_mul_f32_e32 v38, 0xbf737871, v59
	;; [unrolled: 1-line block ×3, first 2 shown]
	v_add_f32_e32 v43, v30, v39
	v_mul_f32_e32 v39, 0xbf167918, v28
	v_mul_f32_e32 v58, 0x3f167918, v29
	;; [unrolled: 1-line block ×5, first 2 shown]
	v_fmac_f32_e32 v34, 0x3f4f1bbd, v29
	v_fmac_f32_e32 v38, 0x3e9e377a, v61
	;; [unrolled: 1-line block ×8, first 2 shown]
	v_sub_f32_e32 v36, v54, v41
	v_sub_f32_e32 v26, v52, v34
	;; [unrolled: 1-line block ×10, first 2 shown]
	s_barrier
	buffer_gl0_inv
	s_and_saveexec_b32 s0, vcc_lo
	s_cbranch_execz .LBB0_17
; %bb.16:
	v_add_f32_e32 v61, v25, v60
	v_mov_b32_e32 v25, 3
	v_add_f32_e32 v35, v55, v35
	v_add_f32_e32 v59, v57, v59
	;; [unrolled: 1-line block ×7, first 2 shown]
	v_lshlrev_b32_sdwa v24, v25, v50 dst_sel:DWORD dst_unused:UNUSED_PAD src0_sel:DWORD src1_sel:WORD_0
	v_add_f32_e32 v58, v53, v38
	v_add_f32_e32 v34, v51, v39
	ds_write_b128 v24, v[54:57]
	ds_write_b128 v24, v[58:61] offset:16
	ds_write_b128 v24, v[34:37] offset:32
	;; [unrolled: 1-line block ×4, first 2 shown]
.LBB0_17:
	s_or_b32 exec_lo, exec_lo, s0
	s_waitcnt lgkmcnt(0)
	s_barrier
	buffer_gl0_inv
	ds_read2_b64 v[38:41], v47 offset1:100
	v_add_nc_u32_e32 v34, 0x400, v47
	ds_read_b64 v[24:25], v47 offset:3200
	ds_read2_b64 v[50:53], v34 offset0:72 offset1:172
	s_waitcnt lgkmcnt(0)
	s_barrier
	buffer_gl0_inv
	v_mul_f32_e32 v34, v21, v41
	v_mul_f32_e32 v21, v21, v40
	;; [unrolled: 1-line block ×3, first 2 shown]
	v_fmac_f32_e32 v34, v20, v40
	v_fma_f32 v40, v20, v41, -v21
	v_mul_f32_e32 v21, v23, v51
	v_mul_f32_e32 v20, v23, v50
	v_mul_f32_e32 v23, v17, v53
	v_mul_f32_e32 v19, v19, v24
	v_fmac_f32_e32 v42, v18, v24
	v_fmac_f32_e32 v21, v22, v50
	v_mul_f32_e32 v17, v17, v52
	v_fmac_f32_e32 v23, v16, v52
	v_fma_f32 v24, v18, v25, -v19
	v_add_f32_e32 v18, v34, v42
	v_fma_f32 v25, v22, v51, -v20
	v_fma_f32 v17, v16, v53, -v17
	v_add_f32_e32 v35, v21, v23
	v_add_f32_e32 v16, v38, v34
	v_sub_f32_e32 v19, v40, v24
	v_sub_f32_e32 v41, v34, v42
	;; [unrolled: 1-line block ×4, first 2 shown]
	v_fma_f32 v22, -0.5, v18, v38
	v_sub_f32_e32 v18, v21, v34
	v_sub_f32_e32 v53, v23, v42
	v_fma_f32 v34, -0.5, v35, v38
	v_sub_f32_e32 v50, v25, v17
	v_add_f32_e32 v38, v51, v52
	v_add_f32_e32 v20, v39, v40
	;; [unrolled: 1-line block ×3, first 2 shown]
	v_fmamk_f32 v18, v19, 0xbf737871, v34
	v_fmac_f32_e32 v34, 0x3f737871, v19
	v_add_f32_e32 v43, v40, v24
	v_add_f32_e32 v16, v16, v21
	;; [unrolled: 1-line block ×3, first 2 shown]
	v_fmac_f32_e32 v18, 0xbf167918, v50
	v_fmac_f32_e32 v34, 0x3f167918, v50
	v_add_f32_e32 v54, v20, v25
	v_add_f32_e32 v16, v16, v23
	v_fmamk_f32 v20, v50, 0x3f737871, v22
	v_fmac_f32_e32 v22, 0xbf737871, v50
	v_fma_f32 v35, -0.5, v55, v39
	v_fmac_f32_e32 v18, 0x3e9e377a, v38
	v_fmac_f32_e32 v34, 0x3e9e377a, v38
	v_sub_f32_e32 v38, v21, v23
	v_fma_f32 v23, -0.5, v43, v39
	v_add_f32_e32 v16, v16, v42
	v_fmac_f32_e32 v20, 0xbf167918, v19
	v_fmac_f32_e32 v22, 0x3f167918, v19
	v_fmamk_f32 v19, v41, 0x3f737871, v35
	v_add_f32_e32 v42, v54, v17
	v_sub_f32_e32 v39, v40, v25
	v_sub_f32_e32 v43, v24, v17
	v_fmac_f32_e32 v35, 0xbf737871, v41
	v_fmamk_f32 v21, v38, 0xbf737871, v23
	v_sub_f32_e32 v25, v25, v40
	v_sub_f32_e32 v17, v17, v24
	v_fmac_f32_e32 v23, 0x3f737871, v38
	v_fmac_f32_e32 v19, 0x3f167918, v38
	v_add_f32_e32 v39, v39, v43
	v_fmac_f32_e32 v35, 0xbf167918, v38
	v_fmac_f32_e32 v21, 0x3f167918, v41
	v_add_f32_e32 v25, v25, v17
	v_fmac_f32_e32 v23, 0xbf167918, v41
	v_fmac_f32_e32 v20, 0x3e9e377a, v51
	;; [unrolled: 1-line block ×3, first 2 shown]
	v_add_f32_e32 v17, v42, v24
	v_fmac_f32_e32 v19, 0x3e9e377a, v39
	v_fmac_f32_e32 v35, 0x3e9e377a, v39
	v_fmac_f32_e32 v21, 0x3e9e377a, v25
	v_fmac_f32_e32 v23, 0x3e9e377a, v25
	ds_write2_b64 v49, v[16:17], v[18:19] offset1:10
	ds_write2_b64 v49, v[20:21], v[22:23] offset0:20 offset1:30
	ds_write_b64 v49, v[34:35] offset:320
	s_waitcnt lgkmcnt(0)
	s_barrier
	buffer_gl0_inv
	s_and_saveexec_b32 s0, vcc_lo
	s_cbranch_execz .LBB0_19
; %bb.18:
	v_add_nc_u32_e32 v24, 0x800, v47
	ds_read2_b64 v[16:19], v47 offset1:50
	ds_read2_b64 v[20:23], v47 offset0:100 offset1:150
	ds_read2_b64 v[34:37], v47 offset0:200 offset1:250
	ds_read2_b64 v[26:29], v24 offset0:44 offset1:94
	ds_read2_b64 v[30:33], v24 offset0:144 offset1:194
.LBB0_19:
	s_or_b32 exec_lo, exec_lo, s0
	s_and_saveexec_b32 s0, vcc_lo
	s_cbranch_execz .LBB0_21
; %bb.20:
	s_waitcnt lgkmcnt(0)
	v_mul_f32_e32 v39, v11, v31
	v_mul_f32_e32 v11, v11, v30
	;; [unrolled: 1-line block ×5, first 2 shown]
	v_fmac_f32_e32 v39, v10, v30
	v_mul_f32_e32 v30, v3, v35
	v_fma_f32 v10, v10, v31, -v11
	v_mul_f32_e32 v11, v15, v27
	v_fma_f32 v24, v2, v35, -v24
	v_fma_f32 v25, v14, v27, -v25
	v_mul_f32_e32 v7, v7, v20
	v_mul_f32_e32 v15, v1, v23
	;; [unrolled: 1-line block ×3, first 2 shown]
	v_fmac_f32_e32 v30, v2, v34
	v_fmac_f32_e32 v11, v14, v26
	v_mul_f32_e32 v2, v46, v33
	v_mul_f32_e32 v14, v9, v29
	;; [unrolled: 1-line block ×4, first 2 shown]
	v_fmac_f32_e32 v38, v6, v20
	v_fma_f32 v6, v6, v21, -v7
	v_fmac_f32_e32 v15, v0, v22
	v_fmac_f32_e32 v31, v12, v36
	;; [unrolled: 1-line block ×3, first 2 shown]
	v_mul_f32_e32 v26, v5, v19
	v_fmac_f32_e32 v14, v8, v28
	v_fma_f32 v12, v12, v37, -v13
	v_mul_f32_e32 v5, v5, v18
	v_fma_f32 v8, v8, v29, -v9
	v_mul_f32_e32 v1, v1, v22
	v_mul_f32_e32 v9, v46, v32
	v_sub_f32_e32 v7, v6, v24
	v_sub_f32_e32 v21, v10, v25
	v_fmac_f32_e32 v26, v4, v18
	v_fma_f32 v4, v4, v19, -v5
	v_add_f32_e32 v5, v12, v8
	v_fma_f32 v0, v0, v23, -v1
	v_fma_f32 v9, v45, v33, -v9
	v_sub_f32_e32 v1, v15, v31
	v_sub_f32_e32 v32, v2, v14
	v_add_f32_e32 v20, v24, v25
	v_add_f32_e32 v13, v31, v14
	v_fma_f32 v18, -0.5, v5, v4
	v_sub_f32_e32 v5, v15, v2
	v_add_f32_e32 v7, v7, v21
	v_add_f32_e32 v21, v1, v32
	;; [unrolled: 1-line block ×4, first 2 shown]
	v_fma_f32 v20, -0.5, v20, v17
	v_fma_f32 v13, -0.5, v13, v26
	v_sub_f32_e32 v19, v0, v9
	v_sub_f32_e32 v22, v0, v12
	;; [unrolled: 1-line block ×3, first 2 shown]
	v_fmamk_f32 v28, v5, 0xbf737871, v18
	v_sub_f32_e32 v29, v31, v14
	v_fma_f32 v40, -0.5, v1, v4
	v_fma_f32 v35, -0.5, v35, v17
	v_sub_f32_e32 v1, v12, v0
	v_add_f32_e32 v17, v17, v6
	v_add_f32_e32 v0, v4, v0
	v_fmamk_f32 v33, v19, 0x3f737871, v13
	v_sub_f32_e32 v34, v12, v8
	v_add_f32_e32 v22, v22, v23
	v_fmac_f32_e32 v28, 0xbf167918, v29
	v_sub_f32_e32 v37, v24, v6
	v_fmac_f32_e32 v18, 0x3f737871, v5
	v_sub_f32_e32 v4, v6, v10
	v_add_f32_e32 v6, v17, v24
	v_add_f32_e32 v0, v0, v12
	v_sub_f32_e32 v12, v38, v30
	v_sub_f32_e32 v17, v39, v11
	v_fmac_f32_e32 v33, 0x3f167918, v34
	v_fmac_f32_e32 v28, 0x3e9e377a, v22
	v_add_f32_e32 v36, v15, v2
	v_sub_f32_e32 v41, v8, v9
	v_fmac_f32_e32 v18, 0x3f167918, v29
	v_add_f32_e32 v6, v6, v25
	v_add_f32_e32 v0, v0, v8
	;; [unrolled: 1-line block ×4, first 2 shown]
	v_sub_f32_e32 v3, v38, v39
	v_fmac_f32_e32 v33, 0x3e9e377a, v21
	v_mul_f32_e32 v32, 0xbf4f1bbd, v28
	v_fma_f32 v36, -0.5, v36, v26
	v_fmamk_f32 v42, v29, 0x3f737871, v40
	v_add_f32_e32 v41, v1, v41
	v_sub_f32_e32 v1, v25, v10
	v_fmac_f32_e32 v40, 0xbf737871, v29
	v_fmac_f32_e32 v18, 0x3e9e377a, v22
	v_add_f32_e32 v22, v30, v11
	v_sub_f32_e32 v24, v24, v25
	v_mul_f32_e32 v25, 0xbf167918, v28
	v_add_f32_e32 v10, v6, v10
	v_fma_f32 v29, -0.5, v12, v16
	v_sub_f32_e32 v6, v30, v38
	v_sub_f32_e32 v12, v11, v39
	v_fmamk_f32 v27, v3, 0xbf737871, v20
	v_sub_f32_e32 v23, v30, v11
	v_fmac_f32_e32 v32, 0x3f167918, v33
	v_sub_f32_e32 v43, v31, v15
	v_sub_f32_e32 v45, v14, v2
	v_fmamk_f32 v46, v34, 0xbf737871, v36
	v_fmac_f32_e32 v36, 0x3f737871, v34
	v_fmac_f32_e32 v40, 0x3f167918, v5
	;; [unrolled: 1-line block ×4, first 2 shown]
	v_fma_f32 v22, -0.5, v22, v16
	v_fmac_f32_e32 v25, 0xbf4f1bbd, v33
	v_fmamk_f32 v33, v24, 0xbf737871, v29
	v_fmac_f32_e32 v29, 0x3f737871, v24
	v_add_f32_e32 v6, v6, v12
	v_add_f32_e32 v12, v16, v38
	v_add_f32_e32 v15, v26, v15
	v_fmac_f32_e32 v42, 0xbf167918, v5
	v_fmac_f32_e32 v27, 0xbf167918, v23
	v_fmamk_f32 v49, v23, 0x3f737871, v35
	v_add_f32_e32 v43, v43, v45
	v_fmac_f32_e32 v35, 0xbf737871, v23
	v_fmac_f32_e32 v36, 0xbf167918, v19
	;; [unrolled: 1-line block ×5, first 2 shown]
	v_fmamk_f32 v23, v4, 0x3f737871, v22
	v_fmac_f32_e32 v33, 0x3f167918, v4
	v_fmac_f32_e32 v29, 0xbf167918, v4
	;; [unrolled: 1-line block ×3, first 2 shown]
	v_add_f32_e32 v4, v12, v30
	v_add_f32_e32 v12, v15, v31
	v_fmac_f32_e32 v46, 0x3f167918, v19
	v_fmac_f32_e32 v42, 0x3e9e377a, v41
	v_add_f32_e32 v37, v37, v1
	v_fmac_f32_e32 v35, 0x3f167918, v3
	v_fmac_f32_e32 v36, 0x3e9e377a, v43
	v_mul_f32_e32 v19, 0x3e9e377a, v40
	v_fmac_f32_e32 v13, 0x3e9e377a, v21
	v_mul_f32_e32 v21, 0x3f4f1bbd, v18
	;; [unrolled: 2-line block ×3, first 2 shown]
	v_add_f32_e32 v4, v4, v11
	v_add_f32_e32 v11, v12, v14
	v_fmac_f32_e32 v49, 0xbf167918, v3
	v_fmac_f32_e32 v46, 0x3e9e377a, v43
	v_mul_f32_e32 v45, 0xbe9e377a, v42
	v_mul_f32_e32 v26, 0xbf737871, v42
	;; [unrolled: 1-line block ×3, first 2 shown]
	v_fmac_f32_e32 v23, 0x3f167918, v24
	v_fmac_f32_e32 v35, 0x3e9e377a, v37
	;; [unrolled: 1-line block ×5, first 2 shown]
	v_add_f32_e32 v28, v0, v9
	v_fmac_f32_e32 v22, 0x3e9e377a, v8
	v_fmac_f32_e32 v16, 0x3f4f1bbd, v13
	v_add_f32_e32 v14, v4, v39
	v_add_f32_e32 v2, v11, v2
	v_fmac_f32_e32 v49, 0x3e9e377a, v37
	v_fmac_f32_e32 v45, 0x3f737871, v46
	;; [unrolled: 1-line block ×8, first 2 shown]
	v_sub_f32_e32 v5, v35, v19
	v_sub_f32_e32 v6, v22, v16
	v_add_f32_e32 v15, v35, v19
	v_add_f32_e32 v17, v20, v21
	;; [unrolled: 1-line block ×5, first 2 shown]
	v_sub_f32_e32 v8, v14, v2
	v_add_f32_e32 v13, v49, v45
	v_add_f32_e32 v12, v33, v26
	;; [unrolled: 1-line block ×3, first 2 shown]
	v_sub_f32_e32 v9, v10, v28
	v_add_f32_e32 v11, v27, v32
	v_add_f32_e32 v10, v23, v25
	v_sub_f32_e32 v7, v20, v21
	v_sub_f32_e32 v4, v29, v30
	v_add_nc_u32_e32 v20, 0x800, v47
	v_sub_f32_e32 v1, v27, v32
	v_sub_f32_e32 v3, v49, v45
	v_sub_f32_e32 v0, v23, v25
	v_sub_f32_e32 v2, v33, v26
	ds_write2_b64 v47, v[18:19], v[16:17] offset1:50
	ds_write2_b64 v47, v[14:15], v[12:13] offset0:100 offset1:150
	ds_write2_b64 v47, v[10:11], v[8:9] offset0:200 offset1:250
	;; [unrolled: 1-line block ×4, first 2 shown]
.LBB0_21:
	s_or_b32 exec_lo, exec_lo, s0
	s_waitcnt lgkmcnt(0)
	s_barrier
	buffer_gl0_inv
	s_and_b32 exec_lo, exec_lo, vcc_lo
	s_cbranch_execz .LBB0_23
; %bb.22:
	v_add_co_u32 v0, s0, s14, v47
	v_add_co_ci_u32_e64 v1, null, s15, 0, s0
	s_clause 0x5
	global_load_dwordx2 v[16:17], v47, s[14:15]
	global_load_dwordx2 v[18:19], v47, s[14:15] offset:400
	global_load_dwordx2 v[20:21], v47, s[14:15] offset:800
	;; [unrolled: 1-line block ×5, first 2 shown]
	v_add_co_u32 v0, vcc_lo, 0x800, v0
	v_add_co_ci_u32_e32 v1, vcc_lo, 0, v1, vcc_lo
	v_mad_u64_u32 v[8:9], null, s6, v44, 0
	v_mad_u64_u32 v[10:11], null, s4, v48, 0
	s_clause 0x3
	global_load_dwordx2 v[28:29], v[0:1], off offset:352
	global_load_dwordx2 v[30:31], v[0:1], off offset:752
	;; [unrolled: 1-line block ×4, first 2 shown]
	ds_read_b64 v[36:37], v47 offset:3200
	s_mov_b32 s0, 0xd2f1a9fc
	s_mov_b32 s1, 0x3f60624d
	v_mov_b32_e32 v0, v9
	s_mul_i32 s2, s5, 0x190
	v_mov_b32_e32 v1, v11
	s_mul_hi_u32 s3, s4, 0x190
	s_mulk_i32 s4, 0x190
	s_add_i32 s3, s3, s2
	v_mad_u64_u32 v[4:5], null, s7, v44, v[0:1]
	v_mad_u64_u32 v[11:12], null, s5, v48, v[1:2]
	ds_read2_b64 v[0:3], v47 offset1:100
	v_add_nc_u32_e32 v12, 0x400, v47
	v_mov_b32_e32 v9, v4
	ds_read2_b64 v[4:7], v47 offset0:50 offset1:150
	v_lshlrev_b64 v[10:11], 3, v[10:11]
	ds_read_b64 v[46:47], v47 offset:3600
	v_lshlrev_b64 v[8:9], 3, v[8:9]
	v_add_co_u32 v8, vcc_lo, s12, v8
	v_add_co_ci_u32_e32 v9, vcc_lo, s13, v9, vcc_lo
	v_add_co_u32 v38, vcc_lo, v8, v10
	v_add_co_ci_u32_e32 v39, vcc_lo, v9, v11, vcc_lo
	ds_read2_b64 v[8:11], v12 offset0:72 offset1:172
	ds_read2_b64 v[12:15], v12 offset0:122 offset1:222
	v_add_co_u32 v40, vcc_lo, v38, s4
	v_add_co_ci_u32_e32 v41, vcc_lo, s3, v39, vcc_lo
	v_add_co_u32 v42, vcc_lo, v40, s4
	v_add_co_ci_u32_e32 v43, vcc_lo, s3, v41, vcc_lo
	v_add_co_u32 v44, vcc_lo, v42, s4
	v_add_co_ci_u32_e32 v45, vcc_lo, s3, v43, vcc_lo
	v_add_co_u32 v48, vcc_lo, v44, s4
	v_add_co_ci_u32_e32 v49, vcc_lo, s3, v45, vcc_lo
	s_waitcnt vmcnt(9) lgkmcnt(4)
	v_mul_f32_e32 v50, v1, v17
	s_waitcnt vmcnt(8) lgkmcnt(3)
	v_mul_f32_e32 v51, v5, v19
	s_waitcnt vmcnt(7)
	v_mul_f32_e32 v52, v3, v21
	v_mul_f32_e32 v17, v0, v17
	;; [unrolled: 1-line block ×3, first 2 shown]
	s_waitcnt vmcnt(6)
	v_mul_f32_e32 v53, v7, v23
	v_fmac_f32_e32 v50, v0, v16
	v_mul_f32_e32 v21, v2, v21
	v_fmac_f32_e32 v51, v4, v18
	v_mul_f32_e32 v23, v6, v23
	s_waitcnt vmcnt(5) lgkmcnt(1)
	v_mul_f32_e32 v54, v9, v25
	v_mul_f32_e32 v25, v8, v25
	v_fmac_f32_e32 v52, v2, v20
	v_fma_f32 v16, v16, v1, -v17
	v_fma_f32 v17, v18, v5, -v19
	v_fmac_f32_e32 v53, v6, v22
	s_waitcnt vmcnt(4) lgkmcnt(0)
	v_mul_f32_e32 v55, v13, v27
	v_mul_f32_e32 v27, v12, v27
	v_cvt_f64_f32_e32 v[0:1], v50
	s_waitcnt vmcnt(3)
	v_mul_f32_e32 v50, v11, v29
	v_mul_f32_e32 v29, v10, v29
	v_fma_f32 v18, v20, v3, -v21
	v_cvt_f64_f32_e32 v[4:5], v51
	s_waitcnt vmcnt(2)
	v_mul_f32_e32 v51, v15, v31
	v_mul_f32_e32 v31, v14, v31
	v_fma_f32 v19, v22, v7, -v23
	v_fmac_f32_e32 v54, v8, v24
	v_fma_f32 v22, v24, v9, -v25
	v_cvt_f64_f32_e32 v[8:9], v52
	s_waitcnt vmcnt(1)
	v_mul_f32_e32 v52, v37, v33
	v_mul_f32_e32 v33, v36, v33
	v_cvt_f64_f32_e32 v[2:3], v16
	v_cvt_f64_f32_e32 v[6:7], v17
	;; [unrolled: 1-line block ×3, first 2 shown]
	s_waitcnt vmcnt(0)
	v_mul_f32_e32 v53, v47, v35
	v_mul_f32_e32 v35, v46, v35
	v_fmac_f32_e32 v55, v12, v26
	v_fma_f32 v26, v26, v13, -v27
	v_fmac_f32_e32 v50, v10, v28
	v_fma_f32 v28, v28, v11, -v29
	v_cvt_f64_f32_e32 v[12:13], v18
	v_fmac_f32_e32 v51, v14, v30
	v_fma_f32 v30, v30, v15, -v31
	v_cvt_f64_f32_e32 v[18:19], v19
	;; [unrolled: 3-line block ×3, first 2 shown]
	v_cvt_f64_f32_e32 v[22:23], v22
	v_fmac_f32_e32 v53, v46, v34
	v_fma_f32 v46, v34, v47, -v35
	v_cvt_f64_f32_e32 v[24:25], v55
	v_cvt_f64_f32_e32 v[26:27], v26
	;; [unrolled: 1-line block ×10, first 2 shown]
	v_mul_f64 v[0:1], v[0:1], s[0:1]
	v_mul_f64 v[2:3], v[2:3], s[0:1]
	;; [unrolled: 1-line block ×10, first 2 shown]
	v_add_co_u32 v50, vcc_lo, v48, s4
	v_mul_f64 v[24:25], v[24:25], s[0:1]
	v_mul_f64 v[26:27], v[26:27], s[0:1]
	;; [unrolled: 1-line block ×10, first 2 shown]
	v_cvt_f32_f64_e32 v0, v[0:1]
	v_cvt_f32_f64_e32 v1, v[2:3]
	;; [unrolled: 1-line block ×4, first 2 shown]
	v_add_co_ci_u32_e32 v51, vcc_lo, s3, v49, vcc_lo
	v_cvt_f32_f64_e32 v4, v[8:9]
	v_cvt_f32_f64_e32 v5, v[12:13]
	v_cvt_f32_f64_e32 v6, v[16:17]
	v_cvt_f32_f64_e32 v7, v[18:19]
	v_cvt_f32_f64_e32 v8, v[20:21]
	v_cvt_f32_f64_e32 v9, v[22:23]
	v_add_co_u32 v52, vcc_lo, v50, s4
	v_cvt_f32_f64_e32 v12, v[24:25]
	v_cvt_f32_f64_e32 v13, v[26:27]
	;; [unrolled: 1-line block ×4, first 2 shown]
	v_add_co_ci_u32_e32 v53, vcc_lo, s3, v51, vcc_lo
	v_cvt_f32_f64_e32 v14, v[28:29]
	v_cvt_f32_f64_e32 v15, v[30:31]
	;; [unrolled: 1-line block ×6, first 2 shown]
	v_add_co_u32 v20, vcc_lo, v52, s4
	v_add_co_ci_u32_e32 v21, vcc_lo, s3, v53, vcc_lo
	v_add_co_u32 v22, vcc_lo, v20, s4
	v_add_co_ci_u32_e32 v23, vcc_lo, s3, v21, vcc_lo
	;; [unrolled: 2-line block ×3, first 2 shown]
	global_store_dwordx2 v[38:39], v[0:1], off
	global_store_dwordx2 v[40:41], v[2:3], off
	;; [unrolled: 1-line block ×10, first 2 shown]
.LBB0_23:
	s_endpgm
	.section	.rodata,"a",@progbits
	.p2align	6, 0x0
	.amdhsa_kernel bluestein_single_fwd_len500_dim1_sp_op_CI_CI
		.amdhsa_group_segment_fixed_size 4000
		.amdhsa_private_segment_fixed_size 0
		.amdhsa_kernarg_size 104
		.amdhsa_user_sgpr_count 6
		.amdhsa_user_sgpr_private_segment_buffer 1
		.amdhsa_user_sgpr_dispatch_ptr 0
		.amdhsa_user_sgpr_queue_ptr 0
		.amdhsa_user_sgpr_kernarg_segment_ptr 1
		.amdhsa_user_sgpr_dispatch_id 0
		.amdhsa_user_sgpr_flat_scratch_init 0
		.amdhsa_user_sgpr_private_segment_size 0
		.amdhsa_wavefront_size32 1
		.amdhsa_uses_dynamic_stack 0
		.amdhsa_system_sgpr_private_segment_wavefront_offset 0
		.amdhsa_system_sgpr_workgroup_id_x 1
		.amdhsa_system_sgpr_workgroup_id_y 0
		.amdhsa_system_sgpr_workgroup_id_z 0
		.amdhsa_system_sgpr_workgroup_info 0
		.amdhsa_system_vgpr_workitem_id 0
		.amdhsa_next_free_vgpr 102
		.amdhsa_next_free_sgpr 16
		.amdhsa_reserve_vcc 1
		.amdhsa_reserve_flat_scratch 0
		.amdhsa_float_round_mode_32 0
		.amdhsa_float_round_mode_16_64 0
		.amdhsa_float_denorm_mode_32 3
		.amdhsa_float_denorm_mode_16_64 3
		.amdhsa_dx10_clamp 1
		.amdhsa_ieee_mode 1
		.amdhsa_fp16_overflow 0
		.amdhsa_workgroup_processor_mode 1
		.amdhsa_memory_ordered 1
		.amdhsa_forward_progress 0
		.amdhsa_shared_vgpr_count 0
		.amdhsa_exception_fp_ieee_invalid_op 0
		.amdhsa_exception_fp_denorm_src 0
		.amdhsa_exception_fp_ieee_div_zero 0
		.amdhsa_exception_fp_ieee_overflow 0
		.amdhsa_exception_fp_ieee_underflow 0
		.amdhsa_exception_fp_ieee_inexact 0
		.amdhsa_exception_int_div_zero 0
	.end_amdhsa_kernel
	.text
.Lfunc_end0:
	.size	bluestein_single_fwd_len500_dim1_sp_op_CI_CI, .Lfunc_end0-bluestein_single_fwd_len500_dim1_sp_op_CI_CI
                                        ; -- End function
	.section	.AMDGPU.csdata,"",@progbits
; Kernel info:
; codeLenInByte = 8272
; NumSgprs: 18
; NumVgprs: 102
; ScratchSize: 0
; MemoryBound: 0
; FloatMode: 240
; IeeeMode: 1
; LDSByteSize: 4000 bytes/workgroup (compile time only)
; SGPRBlocks: 2
; VGPRBlocks: 12
; NumSGPRsForWavesPerEU: 18
; NumVGPRsForWavesPerEU: 102
; Occupancy: 9
; WaveLimiterHint : 1
; COMPUTE_PGM_RSRC2:SCRATCH_EN: 0
; COMPUTE_PGM_RSRC2:USER_SGPR: 6
; COMPUTE_PGM_RSRC2:TRAP_HANDLER: 0
; COMPUTE_PGM_RSRC2:TGID_X_EN: 1
; COMPUTE_PGM_RSRC2:TGID_Y_EN: 0
; COMPUTE_PGM_RSRC2:TGID_Z_EN: 0
; COMPUTE_PGM_RSRC2:TIDIG_COMP_CNT: 0
	.text
	.p2alignl 6, 3214868480
	.fill 48, 4, 3214868480
	.type	__hip_cuid_59daaff8f4d5a184,@object ; @__hip_cuid_59daaff8f4d5a184
	.section	.bss,"aw",@nobits
	.globl	__hip_cuid_59daaff8f4d5a184
__hip_cuid_59daaff8f4d5a184:
	.byte	0                               ; 0x0
	.size	__hip_cuid_59daaff8f4d5a184, 1

	.ident	"AMD clang version 19.0.0git (https://github.com/RadeonOpenCompute/llvm-project roc-6.4.0 25133 c7fe45cf4b819c5991fe208aaa96edf142730f1d)"
	.section	".note.GNU-stack","",@progbits
	.addrsig
	.addrsig_sym __hip_cuid_59daaff8f4d5a184
	.amdgpu_metadata
---
amdhsa.kernels:
  - .args:
      - .actual_access:  read_only
        .address_space:  global
        .offset:         0
        .size:           8
        .value_kind:     global_buffer
      - .actual_access:  read_only
        .address_space:  global
        .offset:         8
        .size:           8
        .value_kind:     global_buffer
      - .actual_access:  read_only
        .address_space:  global
        .offset:         16
        .size:           8
        .value_kind:     global_buffer
      - .actual_access:  read_only
        .address_space:  global
        .offset:         24
        .size:           8
        .value_kind:     global_buffer
      - .actual_access:  read_only
        .address_space:  global
        .offset:         32
        .size:           8
        .value_kind:     global_buffer
      - .offset:         40
        .size:           8
        .value_kind:     by_value
      - .address_space:  global
        .offset:         48
        .size:           8
        .value_kind:     global_buffer
      - .address_space:  global
        .offset:         56
        .size:           8
        .value_kind:     global_buffer
      - .address_space:  global
        .offset:         64
        .size:           8
        .value_kind:     global_buffer
      - .address_space:  global
        .offset:         72
        .size:           8
        .value_kind:     global_buffer
      - .offset:         80
        .size:           4
        .value_kind:     by_value
      - .address_space:  global
        .offset:         88
        .size:           8
        .value_kind:     global_buffer
      - .address_space:  global
        .offset:         96
        .size:           8
        .value_kind:     global_buffer
    .group_segment_fixed_size: 4000
    .kernarg_segment_align: 8
    .kernarg_segment_size: 104
    .language:       OpenCL C
    .language_version:
      - 2
      - 0
    .max_flat_workgroup_size: 100
    .name:           bluestein_single_fwd_len500_dim1_sp_op_CI_CI
    .private_segment_fixed_size: 0
    .sgpr_count:     18
    .sgpr_spill_count: 0
    .symbol:         bluestein_single_fwd_len500_dim1_sp_op_CI_CI.kd
    .uniform_work_group_size: 1
    .uses_dynamic_stack: false
    .vgpr_count:     102
    .vgpr_spill_count: 0
    .wavefront_size: 32
    .workgroup_processor_mode: 1
amdhsa.target:   amdgcn-amd-amdhsa--gfx1030
amdhsa.version:
  - 1
  - 2
...

	.end_amdgpu_metadata
